;; amdgpu-corpus repo=ROCm/rocFFT kind=compiled arch=gfx950 opt=O3
	.text
	.amdgcn_target "amdgcn-amd-amdhsa--gfx950"
	.amdhsa_code_object_version 6
	.protected	fft_rtc_fwd_len168_factors_8_7_3_wgs_224_tpt_56_sp_op_CI_CI_unitstride_sbrr_dirReg ; -- Begin function fft_rtc_fwd_len168_factors_8_7_3_wgs_224_tpt_56_sp_op_CI_CI_unitstride_sbrr_dirReg
	.globl	fft_rtc_fwd_len168_factors_8_7_3_wgs_224_tpt_56_sp_op_CI_CI_unitstride_sbrr_dirReg
	.p2align	8
	.type	fft_rtc_fwd_len168_factors_8_7_3_wgs_224_tpt_56_sp_op_CI_CI_unitstride_sbrr_dirReg,@function
fft_rtc_fwd_len168_factors_8_7_3_wgs_224_tpt_56_sp_op_CI_CI_unitstride_sbrr_dirReg: ; @fft_rtc_fwd_len168_factors_8_7_3_wgs_224_tpt_56_sp_op_CI_CI_unitstride_sbrr_dirReg
; %bb.0:
	s_load_dwordx4 s[4:7], s[0:1], 0x58
	s_load_dwordx4 s[8:11], s[0:1], 0x0
	;; [unrolled: 1-line block ×3, first 2 shown]
	v_mul_u32_u24_e32 v1, 0x493, v0
	v_lshrrev_b32_e32 v1, 16, v1
	v_lshl_add_u32 v10, s2, 2, v1
	v_mov_b32_e32 v8, 0
	s_waitcnt lgkmcnt(0)
	v_cmp_lt_u64_e64 s[2:3], s[10:11], 2
	v_mov_b32_e32 v11, v8
	s_and_b64 vcc, exec, s[2:3]
	v_mov_b64_e32 v[2:3], 0
	s_cbranch_vccnz .LBB0_8
; %bb.1:
	s_load_dwordx2 s[2:3], s[0:1], 0x10
	s_add_u32 s16, s14, 8
	s_addc_u32 s17, s15, 0
	s_add_u32 s18, s12, 8
	s_addc_u32 s19, s13, 0
	s_waitcnt lgkmcnt(0)
	s_add_u32 s20, s2, 8
	v_mov_b64_e32 v[2:3], 0
	s_addc_u32 s21, s3, 0
	s_mov_b64 s[22:23], 1
	v_mov_b64_e32 v[4:5], v[2:3]
.LBB0_2:                                ; =>This Inner Loop Header: Depth=1
	s_load_dwordx2 s[24:25], s[20:21], 0x0
                                        ; implicit-def: $vgpr6_vgpr7
	s_waitcnt lgkmcnt(0)
	v_or_b32_e32 v9, s25, v11
	v_cmp_ne_u64_e32 vcc, 0, v[8:9]
	s_and_saveexec_b64 s[2:3], vcc
	s_xor_b64 s[26:27], exec, s[2:3]
	s_cbranch_execz .LBB0_4
; %bb.3:                                ;   in Loop: Header=BB0_2 Depth=1
	v_cvt_f32_u32_e32 v6, s24
	v_cvt_f32_u32_e32 v7, s25
	s_sub_u32 s2, 0, s24
	s_subb_u32 s3, 0, s25
	v_fmac_f32_e32 v6, 0x4f800000, v7
	v_rcp_f32_e32 v6, v6
	s_nop 0
	v_mul_f32_e32 v6, 0x5f7ffffc, v6
	v_mul_f32_e32 v7, 0x2f800000, v6
	v_trunc_f32_e32 v7, v7
	v_fmac_f32_e32 v6, 0xcf800000, v7
	v_cvt_u32_f32_e32 v9, v7
	v_cvt_u32_f32_e32 v14, v6
	v_mul_lo_u32 v6, s2, v9
	v_mul_hi_u32 v12, s2, v14
	v_mul_lo_u32 v7, s3, v14
	v_add_u32_e32 v12, v12, v6
	v_mul_lo_u32 v15, s2, v14
	v_add_u32_e32 v16, v12, v7
	v_mul_hi_u32 v6, v14, v15
	v_mul_hi_u32 v13, v14, v16
	v_mul_lo_u32 v12, v14, v16
	v_mov_b32_e32 v7, v8
	v_lshl_add_u64 v[6:7], v[6:7], 0, v[12:13]
	v_mul_hi_u32 v13, v9, v15
	v_mul_lo_u32 v15, v9, v15
	v_add_co_u32_e32 v6, vcc, v6, v15
	v_mul_hi_u32 v12, v9, v16
	s_nop 0
	v_addc_co_u32_e32 v6, vcc, v7, v13, vcc
	v_mov_b32_e32 v7, v8
	s_nop 0
	v_addc_co_u32_e32 v13, vcc, 0, v12, vcc
	v_mul_lo_u32 v12, v9, v16
	v_lshl_add_u64 v[6:7], v[6:7], 0, v[12:13]
	v_add_co_u32_e32 v14, vcc, v14, v6
	v_mul_lo_u32 v12, s2, v14
	s_nop 0
	v_addc_co_u32_e32 v9, vcc, v9, v7, vcc
	v_mul_lo_u32 v6, s2, v9
	v_mul_hi_u32 v7, s2, v14
	v_add_u32_e32 v6, v7, v6
	v_mul_lo_u32 v7, s3, v14
	v_add_u32_e32 v15, v6, v7
	v_mul_hi_u32 v17, v9, v12
	v_mul_lo_u32 v18, v9, v12
	v_mul_hi_u32 v7, v14, v15
	v_mul_lo_u32 v6, v14, v15
	v_mul_hi_u32 v12, v14, v12
	v_mov_b32_e32 v13, v8
	v_lshl_add_u64 v[6:7], v[12:13], 0, v[6:7]
	v_add_co_u32_e32 v6, vcc, v6, v18
	v_mul_hi_u32 v16, v9, v15
	s_nop 0
	v_addc_co_u32_e32 v6, vcc, v7, v17, vcc
	v_mul_lo_u32 v12, v9, v15
	s_nop 0
	v_addc_co_u32_e32 v13, vcc, 0, v16, vcc
	v_mov_b32_e32 v7, v8
	v_lshl_add_u64 v[6:7], v[6:7], 0, v[12:13]
	v_add_co_u32_e32 v14, vcc, v14, v6
	v_mul_hi_u32 v12, v10, v14
	s_nop 0
	v_addc_co_u32_e32 v9, vcc, v9, v7, vcc
	v_mad_u64_u32 v[6:7], s[2:3], v10, v9, 0
	v_mov_b32_e32 v13, v8
	v_lshl_add_u64 v[6:7], v[12:13], 0, v[6:7]
	v_mad_u64_u32 v[14:15], s[2:3], v11, v14, 0
	v_add_co_u32_e32 v6, vcc, v6, v14
	v_mad_u64_u32 v[12:13], s[2:3], v11, v9, 0
	s_nop 0
	v_addc_co_u32_e32 v6, vcc, v7, v15, vcc
	v_mov_b32_e32 v7, v8
	s_nop 0
	v_addc_co_u32_e32 v13, vcc, 0, v13, vcc
	v_lshl_add_u64 v[6:7], v[6:7], 0, v[12:13]
	v_mul_lo_u32 v9, s25, v6
	v_mul_lo_u32 v14, s24, v7
	v_mad_u64_u32 v[12:13], s[2:3], s24, v6, 0
	v_add3_u32 v9, v13, v14, v9
	v_sub_u32_e32 v13, v11, v9
	v_mov_b32_e32 v14, s25
	v_sub_co_u32_e32 v16, vcc, v10, v12
	s_nop 1
	v_subb_co_u32_e64 v12, s[2:3], v13, v14, vcc
	v_subrev_co_u32_e64 v13, s[2:3], s24, v16
	v_subb_co_u32_e32 v9, vcc, v11, v9, vcc
	s_nop 0
	v_subbrev_co_u32_e64 v12, s[2:3], 0, v12, s[2:3]
	v_cmp_le_u32_e64 s[2:3], s25, v12
	v_cmp_le_u32_e32 vcc, s25, v9
	s_nop 0
	v_cndmask_b32_e64 v14, 0, -1, s[2:3]
	v_cmp_le_u32_e64 s[2:3], s24, v13
	s_nop 1
	v_cndmask_b32_e64 v13, 0, -1, s[2:3]
	v_cmp_eq_u32_e64 s[2:3], s25, v12
	s_nop 1
	v_cndmask_b32_e64 v17, v14, v13, s[2:3]
	v_lshl_add_u64 v[12:13], v[6:7], 0, 2
	v_lshl_add_u64 v[14:15], v[6:7], 0, 1
	v_cmp_ne_u32_e64 s[2:3], 0, v17
	s_nop 1
	v_cndmask_b32_e64 v13, v15, v13, s[2:3]
	v_cndmask_b32_e64 v15, 0, -1, vcc
	v_cmp_le_u32_e32 vcc, s24, v16
	s_nop 1
	v_cndmask_b32_e64 v16, 0, -1, vcc
	v_cmp_eq_u32_e32 vcc, s25, v9
	s_nop 1
	v_cndmask_b32_e32 v9, v15, v16, vcc
	v_cmp_ne_u32_e32 vcc, 0, v9
	v_cndmask_b32_e64 v9, v14, v12, s[2:3]
	s_nop 0
	v_cndmask_b32_e32 v7, v7, v13, vcc
	v_cndmask_b32_e32 v6, v6, v9, vcc
.LBB0_4:                                ;   in Loop: Header=BB0_2 Depth=1
	s_andn2_saveexec_b64 s[2:3], s[26:27]
	s_cbranch_execz .LBB0_6
; %bb.5:                                ;   in Loop: Header=BB0_2 Depth=1
	v_cvt_f32_u32_e32 v6, s24
	s_sub_i32 s26, 0, s24
	v_rcp_iflag_f32_e32 v6, v6
	s_nop 0
	v_mul_f32_e32 v6, 0x4f7ffffe, v6
	v_cvt_u32_f32_e32 v6, v6
	v_mul_lo_u32 v7, s26, v6
	v_mul_hi_u32 v7, v6, v7
	v_add_u32_e32 v6, v6, v7
	v_mul_hi_u32 v6, v10, v6
	v_mul_lo_u32 v7, v6, s24
	v_sub_u32_e32 v7, v10, v7
	v_add_u32_e32 v9, 1, v6
	v_subrev_u32_e32 v12, s24, v7
	v_cmp_le_u32_e32 vcc, s24, v7
	s_nop 1
	v_cndmask_b32_e32 v7, v7, v12, vcc
	v_cndmask_b32_e32 v6, v6, v9, vcc
	v_add_u32_e32 v9, 1, v6
	v_cmp_le_u32_e32 vcc, s24, v7
	v_mov_b32_e32 v7, v8
	s_nop 0
	v_cndmask_b32_e32 v6, v6, v9, vcc
.LBB0_6:                                ;   in Loop: Header=BB0_2 Depth=1
	s_or_b64 exec, exec, s[2:3]
	v_mad_u64_u32 v[12:13], s[2:3], v6, s24, 0
	s_load_dwordx2 s[2:3], s[18:19], 0x0
	v_mul_lo_u32 v9, v7, s24
	v_mul_lo_u32 v14, v6, s25
	s_load_dwordx2 s[24:25], s[16:17], 0x0
	s_add_u32 s22, s22, 1
	v_add3_u32 v9, v13, v14, v9
	v_sub_co_u32_e32 v10, vcc, v10, v12
	s_addc_u32 s23, s23, 0
	s_nop 0
	v_subb_co_u32_e32 v9, vcc, v11, v9, vcc
	s_add_u32 s16, s16, 8
	s_waitcnt lgkmcnt(0)
	v_mul_lo_u32 v11, s2, v9
	v_mul_lo_u32 v12, s3, v10
	v_mad_u64_u32 v[2:3], s[2:3], s2, v10, v[2:3]
	s_addc_u32 s17, s17, 0
	v_add3_u32 v3, v12, v3, v11
	v_mul_lo_u32 v9, s24, v9
	v_mul_lo_u32 v11, s25, v10
	v_mad_u64_u32 v[4:5], s[2:3], s24, v10, v[4:5]
	s_add_u32 s18, s18, 8
	v_add3_u32 v5, v11, v5, v9
	s_addc_u32 s19, s19, 0
	v_mov_b64_e32 v[10:11], s[10:11]
	s_add_u32 s20, s20, 8
	v_cmp_ge_u64_e32 vcc, s[22:23], v[10:11]
	s_addc_u32 s21, s21, 0
	s_cbranch_vccnz .LBB0_9
; %bb.7:                                ;   in Loop: Header=BB0_2 Depth=1
	v_mov_b64_e32 v[10:11], v[6:7]
	s_branch .LBB0_2
.LBB0_8:
	v_mov_b64_e32 v[4:5], v[2:3]
	v_mov_b64_e32 v[6:7], v[10:11]
.LBB0_9:
	s_load_dwordx2 s[0:1], s[0:1], 0x28
	s_lshl_b64 s[10:11], s[10:11], 3
	s_add_u32 s2, s14, s10
	v_and_b32_e32 v1, 3, v1
	s_addc_u32 s3, s15, s11
	s_waitcnt lgkmcnt(0)
	v_cmp_gt_u64_e32 vcc, s[0:1], v[6:7]
	v_cmp_le_u64_e64 s[0:1], s[0:1], v[6:7]
                                        ; implicit-def: $vgpr8
	s_and_saveexec_b64 s[14:15], s[0:1]
	s_xor_b64 s[0:1], exec, s[14:15]
; %bb.10:
	s_mov_b32 s14, 0x4924925
	v_mul_hi_u32 v2, v0, s14
	v_mul_u32_u24_e32 v2, 56, v2
	v_sub_u32_e32 v8, v0, v2
                                        ; implicit-def: $vgpr0
                                        ; implicit-def: $vgpr2_vgpr3
; %bb.11:
	s_or_saveexec_b64 s[0:1], s[0:1]
	v_mul_u32_u24_e32 v1, 0xa8, v1
	v_lshlrev_b32_e32 v30, 3, v1
	s_xor_b64 exec, exec, s[0:1]
	s_cbranch_execz .LBB0_13
; %bb.12:
	s_add_u32 s10, s12, s10
	s_addc_u32 s11, s13, s11
	s_load_dwordx2 s[10:11], s[10:11], 0x0
	s_mov_b32 s12, 0x4924925
	s_waitcnt lgkmcnt(0)
	v_mul_lo_u32 v1, s11, v6
	v_mul_lo_u32 v8, s10, v7
	v_mad_u64_u32 v[10:11], s[10:11], s10, v6, 0
	v_add3_u32 v11, v11, v8, v1
	v_mul_hi_u32 v1, v0, s12
	v_mul_u32_u24_e32 v1, 56, v1
	v_sub_u32_e32 v8, v0, v1
	v_lshl_add_u64 v[0:1], v[10:11], 3, s[4:5]
	v_lshl_add_u64 v[0:1], v[2:3], 3, v[0:1]
	v_lshlrev_b32_e32 v2, 3, v8
	v_mov_b32_e32 v3, 0
	v_lshl_add_u64 v[0:1], v[0:1], 0, v[2:3]
	global_load_dwordx2 v[10:11], v[0:1], off
	global_load_dwordx2 v[12:13], v[0:1], off offset:448
	global_load_dwordx2 v[14:15], v[0:1], off offset:896
	v_add3_u32 v0, 0, v30, v2
	s_waitcnt vmcnt(1)
	ds_write2_b64 v0, v[10:11], v[12:13] offset1:56
	s_waitcnt vmcnt(0)
	ds_write_b64 v0, v[14:15] offset:896
.LBB0_13:
	s_or_b64 exec, exec, s[0:1]
	v_lshlrev_b32_e32 v0, 3, v8
	v_add_u32_e32 v31, 0, v0
	v_add_u32_e32 v9, 0, v30
	;; [unrolled: 1-line block ×3, first 2 shown]
	s_waitcnt lgkmcnt(0)
	s_barrier
	v_add_u32_e32 v29, v9, v0
	ds_read2_b64 v[0:3], v28 offset0:63 offset1:84
	ds_read_b64 v[18:19], v29
	ds_read2_b64 v[10:13], v28 offset0:21 offset1:42
	ds_read2_b64 v[14:17], v28 offset0:105 offset1:126
	ds_read_b64 v[20:21], v28 offset:1176
	s_mov_b32 s0, 0x3f3504f3
	s_waitcnt lgkmcnt(3)
	v_pk_add_f32 v[2:3], v[18:19], v[2:3] neg_lo:[0,1] neg_hi:[0,1]
	s_mov_b32 s1, 2.0
	s_waitcnt lgkmcnt(1)
	v_pk_add_f32 v[16:17], v[12:13], v[16:17] neg_lo:[0,1] neg_hi:[0,1]
	v_pk_fma_f32 v[18:19], v[18:19], 2.0, v[2:3] op_sel_hi:[1,0,1] neg_lo:[0,0,1] neg_hi:[0,0,1]
	v_pk_fma_f32 v[12:13], v[12:13], 2.0, v[16:17] op_sel_hi:[1,0,1] neg_lo:[0,0,1] neg_hi:[0,0,1]
	v_pk_add_f32 v[22:23], v[10:11], v[14:15] neg_lo:[0,1] neg_hi:[0,1]
	s_waitcnt lgkmcnt(0)
	v_pk_add_f32 v[20:21], v[0:1], v[20:21] neg_lo:[0,1] neg_hi:[0,1]
	v_pk_fma_f32 v[10:11], v[10:11], 2.0, v[22:23] op_sel_hi:[1,0,1] neg_lo:[0,0,1] neg_hi:[0,0,1]
	v_pk_fma_f32 v[0:1], v[0:1], 2.0, v[20:21] op_sel_hi:[1,0,1] neg_lo:[0,0,1] neg_hi:[0,0,1]
	v_pk_add_f32 v[14:15], v[18:19], v[12:13] neg_lo:[0,1] neg_hi:[0,1]
	v_pk_add_f32 v[24:25], v[2:3], v[16:17] op_sel:[0,1] op_sel_hi:[1,0] neg_lo:[0,1] neg_hi:[0,1]
	v_pk_fma_f32 v[12:13], v[18:19], 2.0, v[14:15] op_sel_hi:[1,0,1] neg_lo:[0,0,1] neg_hi:[0,0,1]
	v_pk_add_f32 v[18:19], v[10:11], v[0:1] neg_lo:[0,1] neg_hi:[0,1]
	v_pk_add_f32 v[16:17], v[2:3], v[16:17] op_sel:[0,1] op_sel_hi:[1,0]
	v_pk_fma_f32 v[0:1], v[10:11], 2.0, v[18:19] op_sel_hi:[1,0,1] neg_lo:[0,0,1] neg_hi:[0,0,1]
	v_mov_b32_e32 v25, v17
	v_pk_add_f32 v[0:1], v[12:13], v[0:1] neg_lo:[0,1] neg_hi:[0,1]
	v_pk_fma_f32 v[32:33], v[2:3], 2.0, v[24:25] op_sel_hi:[1,0,1] neg_lo:[0,0,1] neg_hi:[0,0,1]
	v_pk_fma_f32 v[10:11], v[12:13], 2.0, v[0:1] op_sel_hi:[1,0,1] neg_lo:[0,0,1] neg_hi:[0,0,1]
	v_pk_add_f32 v[12:13], v[14:15], v[18:19] op_sel:[0,1] op_sel_hi:[1,0] neg_lo:[0,1] neg_hi:[0,1]
	v_pk_add_f32 v[2:3], v[14:15], v[18:19] op_sel:[0,1] op_sel_hi:[1,0]
	v_pk_add_f32 v[18:19], v[22:23], v[20:21] op_sel:[0,1] op_sel_hi:[1,0] neg_lo:[0,1] neg_hi:[0,1]
	v_pk_add_f32 v[20:21], v[22:23], v[20:21] op_sel:[0,1] op_sel_hi:[1,0]
	v_mov_b32_e32 v13, v3
	v_mov_b32_e32 v19, v21
	v_fma_f32 v2, v23, 2.0, -v21
	v_pk_fma_f32 v[36:37], v[18:19], s[0:1], v[24:25] op_sel_hi:[1,0,1]
	v_fma_f32 v20, v22, 2.0, -v18
	v_mul_f32_e32 v26, 0x3f3504f3, v2
	v_mov_b32_e32 v2, v37
	v_mov_b32_e32 v21, v24
	v_pk_fma_f32 v[22:23], v[18:19], s[0:1], v[2:3] op_sel_hi:[1,0,1]
	v_add_f32_e32 v2, v17, v17
	v_pk_fma_f32 v[16:17], v[20:21], s[0:1], v[32:33] neg_lo:[1,0,0] neg_hi:[1,0,0]
	v_pk_mul_f32 v[34:35], v[18:19], s[0:1] op_sel_hi:[1,0]
	v_mov_b32_e32 v17, v2
	v_mov_b32_e32 v27, v22
	v_pk_add_f32 v[16:17], v[16:17], v[26:27] neg_lo:[0,1] neg_hi:[0,1]
	v_mov_b32_e32 v18, v33
	v_mov_b32_e32 v19, v36
	;; [unrolled: 1-line block ×3, first 2 shown]
	v_pk_add_f32 v[24:25], v[18:19], v[26:27] neg_lo:[0,1] neg_hi:[0,1]
	v_mov_b32_e32 v26, v16
	v_pk_fma_f32 v[18:19], v[20:21], s[0:1], v[24:25]
	v_pk_fma_f32 v[20:21], v[20:21], s[0:1], v[24:25] neg_lo:[0,0,1] neg_hi:[0,0,1]
	v_mov_b32_e32 v27, v18
	v_pk_fma_f32 v[14:15], v[14:15], 2.0, v[12:13] op_sel_hi:[1,0,1] neg_lo:[0,0,1] neg_hi:[0,0,1]
	v_mov_b32_e32 v19, v21
	v_pk_fma_f32 v[20:21], v[32:33], 2.0, v[26:27] op_sel_hi:[1,0,1] neg_lo:[0,0,1] neg_hi:[0,0,1]
	v_cmp_gt_u32_e64 s[0:1], 21, v8
	s_barrier
	s_and_saveexec_b64 s[4:5], s[0:1]
	s_cbranch_execz .LBB0_15
; %bb.14:
	v_mul_u32_u24_e32 v2, 56, v8
	v_add3_u32 v2, v31, v2, v30
	v_mov_b32_e32 v32, v19
	v_mov_b32_e32 v33, v17
	;; [unrolled: 1-line block ×4, first 2 shown]
	ds_write2_b64 v2, v[10:11], v[20:21] offset1:1
	ds_write2_b64 v2, v[14:15], v[32:33] offset0:2 offset1:3
	ds_write2_b64 v2, v[0:1], v[26:27] offset0:4 offset1:5
	;; [unrolled: 1-line block ×3, first 2 shown]
.LBB0_15:
	s_or_b64 exec, exec, s[4:5]
	v_cmp_gt_u32_e64 s[0:1], 24, v8
	v_mov_b32_e32 v22, v14
	v_mov_b32_e32 v23, v1
	s_waitcnt lgkmcnt(0)
	s_barrier
	s_and_saveexec_b64 s[4:5], s[0:1]
	s_cbranch_execz .LBB0_17
; %bb.16:
	ds_read2_b64 v[24:27], v28 offset0:24 offset1:48
	ds_read2_b64 v[32:35], v28 offset0:72 offset1:96
	;; [unrolled: 1-line block ×3, first 2 shown]
	ds_read_b64 v[10:11], v29
	s_waitcnt lgkmcnt(3)
	v_mov_b32_e32 v22, v26
	s_waitcnt lgkmcnt(2)
	v_mov_b32_e32 v23, v35
	;; [unrolled: 2-line block ×3, first 2 shown]
	v_mov_b32_e32 v17, v33
	v_mov_b32_e32 v12, v2
	;; [unrolled: 1-line block ×8, first 2 shown]
.LBB0_17:
	s_or_b64 exec, exec, s[4:5]
	s_waitcnt lgkmcnt(0)
	s_barrier
	s_and_saveexec_b64 s[4:5], s[0:1]
	s_cbranch_execz .LBB0_19
; %bb.18:
	v_and_b32_e32 v1, 7, v8
	v_mul_u32_u24_e32 v2, 6, v1
	v_lshlrev_b32_e32 v2, 3, v2
	global_load_dwordx4 v[24:27], v2, s[8:9]
	global_load_dwordx4 v[32:35], v2, s[8:9] offset:32
	global_load_dwordx4 v[36:39], v2, s[8:9] offset:16
	v_lshrrev_b32_e32 v13, 3, v8
	v_mov_b32_e32 v42, v3
	v_mov_b32_e32 v44, v3
	v_mul_u32_u24_e32 v3, 56, v13
	v_or_b32_e32 v1, v3, v1
	v_lshlrev_b32_e32 v1, 3, v1
	v_mov_b32_e32 v2, v15
	v_mov_b32_e32 v40, v15
	;; [unrolled: 1-line block ×5, first 2 shown]
	v_add3_u32 v43, 0, v1, v30
	s_mov_b32 s10, 0xbf08b237
	s_mov_b32 s12, 0x3f4a47b2
	;; [unrolled: 1-line block ×7, first 2 shown]
	s_waitcnt vmcnt(2)
	v_mov_b32_e32 v48, v27
	s_waitcnt vmcnt(1)
	v_mov_b32_e32 v52, v33
	;; [unrolled: 2-line block ×3, first 2 shown]
	v_mov_b32_e32 v53, v37
	v_pk_mul_f32 v[20:21], v[20:21], v[24:25] op_sel_hi:[0,1]
	v_pk_mul_f32 v[12:13], v[12:13], v[34:35] op_sel_hi:[0,1]
	v_mov_b32_e32 v30, v26
	v_mov_b32_e32 v31, v38
	;; [unrolled: 1-line block ×4, first 2 shown]
	v_mul_f32_e32 v45, v15, v27
	v_mul_f32_e32 v47, v18, v33
	;; [unrolled: 1-line block ×4, first 2 shown]
	v_pk_mul_f32 v[38:39], v[22:23], v[48:49]
	v_pk_mul_f32 v[48:49], v[16:17], v[52:53]
	v_mul_f32_e32 v1, v19, v37
	v_mul_f32_e32 v37, v17, v36
	v_fma_f32 v36, v22, v26, -v45
	v_fma_f32 v0, v16, v32, -v47
	v_pk_fma_f32 v[16:17], v[42:43], v[34:35], v[12:13] op_sel:[0,0,1] op_sel_hi:[1,1,0]
	v_pk_fma_f32 v[12:13], v[44:45], v[34:35], v[12:13] op_sel:[0,0,1] op_sel_hi:[0,1,0] neg_lo:[1,0,0] neg_hi:[1,0,0]
	v_pk_fma_f32 v[22:23], v[14:15], v[24:25], v[20:21] op_sel:[0,0,1] op_sel_hi:[1,1,0]
	v_pk_fma_f32 v[20:21], v[46:47], v[24:25], v[20:21] op_sel:[0,0,1] op_sel_hi:[0,1,0] neg_lo:[1,0,0] neg_hi:[1,0,0]
	v_pk_fma_f32 v[32:33], v[18:19], v[32:33], v[48:49]
	v_pk_fma_f32 v[18:19], v[18:19], v[50:51], v[48:49] neg_lo:[0,0,1] neg_hi:[0,0,1]
	v_pk_fma_f32 v[26:27], v[2:3], v[26:27], v[38:39]
	v_pk_fma_f32 v[30:31], v[40:41], v[30:31], v[38:39] neg_lo:[0,0,1] neg_hi:[0,0,1]
	v_mov_b32_e32 v17, v13
	v_mov_b32_e32 v23, v21
	;; [unrolled: 1-line block ×6, first 2 shown]
	v_pk_add_f32 v[24:25], v[36:37], v[0:1]
	v_pk_add_f32 v[20:21], v[22:23], v[16:17]
	v_pk_add_f32 v[16:17], v[22:23], v[16:17] neg_lo:[0,1] neg_hi:[0,1]
	v_pk_add_f32 v[2:3], v[14:15], v[2:3]
	v_pk_add_f32 v[22:23], v[26:27], v[32:33]
	v_mov_b32_e32 v1, v36
	v_mov_b32_e32 v13, v0
	;; [unrolled: 1-line block ×8, first 2 shown]
	v_pk_add_f32 v[34:35], v[24:25], v[2:3]
	v_pk_add_f32 v[0:1], v[0:1], v[12:13] neg_lo:[0,1] neg_hi:[0,1]
	v_pk_add_f32 v[14:15], v[14:15], v[18:19]
	v_pk_add_f32 v[26:27], v[26:27], v[32:33] neg_lo:[0,1] neg_hi:[0,1]
	v_mov_b32_e32 v31, v17
	v_mov_b32_e32 v3, v35
	;; [unrolled: 1-line block ×3, first 2 shown]
	v_pk_add_f32 v[36:37], v[34:35], v[14:15]
	v_mov_b32_e32 v15, v22
	v_pk_add_f32 v[18:19], v[30:31], v[26:27] neg_lo:[0,1] neg_hi:[0,1]
	v_pk_add_f32 v[38:39], v[2:3], v[14:15] neg_lo:[0,1] neg_hi:[0,1]
	v_mov_b32_e32 v15, v20
	v_mov_b32_e32 v25, v35
	;; [unrolled: 1-line block ×4, first 2 shown]
	v_pk_mul_f32 v[18:19], v[18:19], s[10:11]
	v_pk_add_f32 v[14:15], v[14:15], v[24:25] neg_lo:[0,1] neg_hi:[0,1]
	s_mov_b32 s10, s13
	s_mov_b32 s11, s12
	v_pk_add_f32 v[12:13], v[26:27], v[0:1]
	v_pk_add_f32 v[32:33], v[32:33], v[0:1] neg_lo:[0,1] neg_hi:[0,1]
	v_pk_add_f32 v[10:11], v[10:11], v[36:37]
	v_pk_mul_f32 v[14:15], v[14:15], s[10:11]
	s_mov_b32 s10, 0xbf955555
	v_pk_add_f32 v[12:13], v[12:13], v[16:17]
	v_pk_mul_f32 v[30:31], v[32:33], s[14:15]
	v_pk_fma_f32 v[34:35], v[38:39], s[12:13], v[14:15]
	v_pk_fma_f32 v[36:37], v[36:37], s[10:11], v[10:11] op_sel_hi:[1,0,1]
	v_pk_fma_f32 v[32:33], v[32:33], s[14:15], v[18:19]
	v_pk_add_f32 v[34:35], v[34:35], v[36:37]
	v_pk_fma_f32 v[32:33], v[12:13], s[0:1], v[32:33] op_sel_hi:[1,0,1]
	v_pk_mul_f32 v[40:41], v[38:39], s[12:13]
	v_pk_add_f32 v[38:39], v[34:35], v[32:33]
	v_pk_add_f32 v[32:33], v[34:35], v[32:33] neg_lo:[0,1] neg_hi:[0,1]
	v_mov_b32_e32 v34, v38
	v_mov_b32_e32 v35, v33
	;; [unrolled: 1-line block ×5, first 2 shown]
	ds_write2_b64 v43, v[10:11], v[34:35] offset1:8
	v_pk_add_f32 v[0:1], v[26:27], v[16:17] neg_lo:[0,1] neg_hi:[0,1]
	s_mov_b32 s10, 0x3f5ff5aa
	v_mov_b32_e32 v10, v40
	v_mov_b32_e32 v11, v15
	v_pk_add_f32 v[2:3], v[24:25], v[2:3] neg_lo:[0,1] neg_hi:[0,1]
	s_mov_b32 s12, 0x3f3bfb3b
	v_mov_b32_e32 v16, v30
	v_mov_b32_e32 v17, v19
	;; [unrolled: 1-line block ×4, first 2 shown]
	v_pk_fma_f32 v[10:11], v[2:3], s[12:13], v[10:11] op_sel_hi:[1,0,1] neg_lo:[1,0,1] neg_hi:[1,0,1]
	v_pk_fma_f32 v[16:17], v[0:1], s[10:11], v[16:17] op_sel_hi:[1,0,1] neg_lo:[1,0,1] neg_hi:[1,0,1]
	;; [unrolled: 1-line block ×4, first 2 shown]
	v_pk_add_f32 v[10:11], v[10:11], v[36:37]
	v_pk_fma_f32 v[16:17], v[12:13], s[0:1], v[16:17] op_sel_hi:[1,0,1]
	v_pk_fma_f32 v[0:1], v[12:13], s[0:1], v[0:1] op_sel_hi:[1,0,1]
	v_pk_add_f32 v[2:3], v[2:3], v[36:37]
	v_pk_add_f32 v[20:21], v[10:11], v[16:17]
	v_pk_add_f32 v[10:11], v[10:11], v[16:17] neg_lo:[0,1] neg_hi:[0,1]
	v_pk_add_f32 v[12:13], v[2:3], v[0:1] neg_lo:[0,1] neg_hi:[0,1]
	v_pk_add_f32 v[0:1], v[2:3], v[0:1]
	v_mov_b32_e32 v16, v20
	v_mov_b32_e32 v17, v11
	v_mov_b32_e32 v2, v12
	v_mov_b32_e32 v3, v1
	v_mov_b32_e32 v1, v13
	v_mov_b32_e32 v11, v21
	v_mov_b32_e32 v33, v39
	ds_write2_b64 v43, v[16:17], v[2:3] offset0:16 offset1:24
	ds_write2_b64 v43, v[0:1], v[10:11] offset0:32 offset1:40
	ds_write_b64 v43, v[32:33] offset:384
.LBB0_19:
	s_or_b64 exec, exec, s[4:5]
	v_lshlrev_b32_e32 v0, 1, v8
	v_mov_b32_e32 v1, 0
	v_lshl_add_u64 v[2:3], v[0:1], 3, s[8:9]
	s_load_dwordx2 s[0:1], s[2:3], 0x0
	s_waitcnt lgkmcnt(0)
	s_barrier
	global_load_dwordx4 v[10:13], v[2:3], off offset:384
	ds_read_b64 v[2:3], v29
	ds_read2_b64 v[14:17], v28 offset0:56 offset1:112
	s_mov_b32 s2, 0x3f5db3d7
	s_waitcnt lgkmcnt(0)
	s_barrier
	s_waitcnt vmcnt(0)
	v_pk_mul_f32 v[18:19], v[10:11], v[14:15] op_sel:[0,1]
	v_pk_mul_f32 v[20:21], v[12:13], v[16:17] op_sel:[0,1]
	v_pk_fma_f32 v[22:23], v[10:11], v[14:15], v[18:19] op_sel:[0,0,1] op_sel_hi:[1,1,0] neg_lo:[0,0,1] neg_hi:[0,0,1]
	v_pk_fma_f32 v[10:11], v[10:11], v[14:15], v[18:19] op_sel:[0,0,1] op_sel_hi:[1,0,0]
	v_pk_fma_f32 v[14:15], v[12:13], v[16:17], v[20:21] op_sel:[0,0,1] op_sel_hi:[1,1,0] neg_lo:[0,0,1] neg_hi:[0,0,1]
	v_pk_fma_f32 v[12:13], v[12:13], v[16:17], v[20:21] op_sel:[0,0,1] op_sel_hi:[1,0,0]
	v_mov_b32_e32 v23, v11
	v_mov_b32_e32 v15, v13
	v_pk_add_f32 v[12:13], v[22:23], v[14:15]
	v_pk_add_f32 v[16:17], v[22:23], v[14:15] neg_lo:[0,1] neg_hi:[0,1]
	v_pk_add_f32 v[10:11], v[22:23], v[2:3]
	v_pk_fma_f32 v[2:3], -0.5, v[12:13], v[2:3] op_sel_hi:[0,1,1]
	v_pk_mul_f32 v[12:13], v[16:17], s[2:3] op_sel_hi:[1,0]
	v_pk_add_f32 v[10:11], v[10:11], v[14:15]
	v_pk_add_f32 v[14:15], v[2:3], v[12:13] op_sel:[0,1] op_sel_hi:[1,0]
	v_pk_add_f32 v[2:3], v[2:3], v[12:13] op_sel:[0,1] op_sel_hi:[1,0] neg_lo:[0,1] neg_hi:[0,1]
	v_mov_b32_e32 v12, v14
	v_mov_b32_e32 v13, v3
	;; [unrolled: 1-line block ×3, first 2 shown]
	ds_write2_b64 v28, v[10:11], v[12:13] offset1:56
	ds_write_b64 v28, v[2:3] offset:896
	s_waitcnt lgkmcnt(0)
	s_barrier
	s_and_saveexec_b64 s[2:3], vcc
	s_cbranch_execz .LBB0_21
; %bb.20:
	v_mul_lo_u32 v0, s1, v6
	v_mul_lo_u32 v7, s0, v7
	v_mad_u64_u32 v[2:3], s[0:1], s0, v6, 0
	v_lshl_add_u32 v6, v8, 3, v9
	ds_read2_b64 v[10:13], v6 offset1:56
	v_add3_u32 v3, v3, v7, v0
	v_lshl_add_u64 v[2:3], v[2:3], 3, s[6:7]
	v_mov_b32_e32 v9, v1
	v_lshl_add_u64 v[2:3], v[4:5], 3, v[2:3]
	v_lshl_add_u64 v[4:5], v[8:9], 3, v[2:3]
	s_waitcnt lgkmcnt(0)
	global_store_dwordx2 v[4:5], v[10:11], off
	ds_read_b64 v[4:5], v6 offset:896
	v_add_u32_e32 v0, 56, v8
	v_lshl_add_u64 v[6:7], v[0:1], 3, v[2:3]
	v_add_u32_e32 v0, 0x70, v8
	v_lshl_add_u64 v[0:1], v[0:1], 3, v[2:3]
	global_store_dwordx2 v[6:7], v[12:13], off
	s_waitcnt lgkmcnt(0)
	global_store_dwordx2 v[0:1], v[4:5], off
.LBB0_21:
	s_endpgm
	.section	.rodata,"a",@progbits
	.p2align	6, 0x0
	.amdhsa_kernel fft_rtc_fwd_len168_factors_8_7_3_wgs_224_tpt_56_sp_op_CI_CI_unitstride_sbrr_dirReg
		.amdhsa_group_segment_fixed_size 0
		.amdhsa_private_segment_fixed_size 0
		.amdhsa_kernarg_size 104
		.amdhsa_user_sgpr_count 2
		.amdhsa_user_sgpr_dispatch_ptr 0
		.amdhsa_user_sgpr_queue_ptr 0
		.amdhsa_user_sgpr_kernarg_segment_ptr 1
		.amdhsa_user_sgpr_dispatch_id 0
		.amdhsa_user_sgpr_kernarg_preload_length 0
		.amdhsa_user_sgpr_kernarg_preload_offset 0
		.amdhsa_user_sgpr_private_segment_size 0
		.amdhsa_uses_dynamic_stack 0
		.amdhsa_enable_private_segment 0
		.amdhsa_system_sgpr_workgroup_id_x 1
		.amdhsa_system_sgpr_workgroup_id_y 0
		.amdhsa_system_sgpr_workgroup_id_z 0
		.amdhsa_system_sgpr_workgroup_info 0
		.amdhsa_system_vgpr_workitem_id 0
		.amdhsa_next_free_vgpr 54
		.amdhsa_next_free_sgpr 28
		.amdhsa_accum_offset 56
		.amdhsa_reserve_vcc 1
		.amdhsa_float_round_mode_32 0
		.amdhsa_float_round_mode_16_64 0
		.amdhsa_float_denorm_mode_32 3
		.amdhsa_float_denorm_mode_16_64 3
		.amdhsa_dx10_clamp 1
		.amdhsa_ieee_mode 1
		.amdhsa_fp16_overflow 0
		.amdhsa_tg_split 0
		.amdhsa_exception_fp_ieee_invalid_op 0
		.amdhsa_exception_fp_denorm_src 0
		.amdhsa_exception_fp_ieee_div_zero 0
		.amdhsa_exception_fp_ieee_overflow 0
		.amdhsa_exception_fp_ieee_underflow 0
		.amdhsa_exception_fp_ieee_inexact 0
		.amdhsa_exception_int_div_zero 0
	.end_amdhsa_kernel
	.text
.Lfunc_end0:
	.size	fft_rtc_fwd_len168_factors_8_7_3_wgs_224_tpt_56_sp_op_CI_CI_unitstride_sbrr_dirReg, .Lfunc_end0-fft_rtc_fwd_len168_factors_8_7_3_wgs_224_tpt_56_sp_op_CI_CI_unitstride_sbrr_dirReg
                                        ; -- End function
	.section	.AMDGPU.csdata,"",@progbits
; Kernel info:
; codeLenInByte = 3332
; NumSgprs: 34
; NumVgprs: 54
; NumAgprs: 0
; TotalNumVgprs: 54
; ScratchSize: 0
; MemoryBound: 0
; FloatMode: 240
; IeeeMode: 1
; LDSByteSize: 0 bytes/workgroup (compile time only)
; SGPRBlocks: 4
; VGPRBlocks: 6
; NumSGPRsForWavesPerEU: 34
; NumVGPRsForWavesPerEU: 54
; AccumOffset: 56
; Occupancy: 8
; WaveLimiterHint : 1
; COMPUTE_PGM_RSRC2:SCRATCH_EN: 0
; COMPUTE_PGM_RSRC2:USER_SGPR: 2
; COMPUTE_PGM_RSRC2:TRAP_HANDLER: 0
; COMPUTE_PGM_RSRC2:TGID_X_EN: 1
; COMPUTE_PGM_RSRC2:TGID_Y_EN: 0
; COMPUTE_PGM_RSRC2:TGID_Z_EN: 0
; COMPUTE_PGM_RSRC2:TIDIG_COMP_CNT: 0
; COMPUTE_PGM_RSRC3_GFX90A:ACCUM_OFFSET: 13
; COMPUTE_PGM_RSRC3_GFX90A:TG_SPLIT: 0
	.text
	.p2alignl 6, 3212836864
	.fill 256, 4, 3212836864
	.type	__hip_cuid_242ea29ad616c4a8,@object ; @__hip_cuid_242ea29ad616c4a8
	.section	.bss,"aw",@nobits
	.globl	__hip_cuid_242ea29ad616c4a8
__hip_cuid_242ea29ad616c4a8:
	.byte	0                               ; 0x0
	.size	__hip_cuid_242ea29ad616c4a8, 1

	.ident	"AMD clang version 19.0.0git (https://github.com/RadeonOpenCompute/llvm-project roc-6.4.0 25133 c7fe45cf4b819c5991fe208aaa96edf142730f1d)"
	.section	".note.GNU-stack","",@progbits
	.addrsig
	.addrsig_sym __hip_cuid_242ea29ad616c4a8
	.amdgpu_metadata
---
amdhsa.kernels:
  - .agpr_count:     0
    .args:
      - .actual_access:  read_only
        .address_space:  global
        .offset:         0
        .size:           8
        .value_kind:     global_buffer
      - .offset:         8
        .size:           8
        .value_kind:     by_value
      - .actual_access:  read_only
        .address_space:  global
        .offset:         16
        .size:           8
        .value_kind:     global_buffer
      - .actual_access:  read_only
        .address_space:  global
        .offset:         24
        .size:           8
        .value_kind:     global_buffer
      - .actual_access:  read_only
        .address_space:  global
        .offset:         32
        .size:           8
        .value_kind:     global_buffer
      - .offset:         40
        .size:           8
        .value_kind:     by_value
      - .actual_access:  read_only
        .address_space:  global
        .offset:         48
        .size:           8
        .value_kind:     global_buffer
      - .actual_access:  read_only
        .address_space:  global
        .offset:         56
        .size:           8
        .value_kind:     global_buffer
      - .offset:         64
        .size:           4
        .value_kind:     by_value
      - .actual_access:  read_only
        .address_space:  global
        .offset:         72
        .size:           8
        .value_kind:     global_buffer
      - .actual_access:  read_only
        .address_space:  global
        .offset:         80
        .size:           8
        .value_kind:     global_buffer
      - .actual_access:  read_only
        .address_space:  global
        .offset:         88
        .size:           8
        .value_kind:     global_buffer
      - .actual_access:  write_only
        .address_space:  global
        .offset:         96
        .size:           8
        .value_kind:     global_buffer
    .group_segment_fixed_size: 0
    .kernarg_segment_align: 8
    .kernarg_segment_size: 104
    .language:       OpenCL C
    .language_version:
      - 2
      - 0
    .max_flat_workgroup_size: 224
    .name:           fft_rtc_fwd_len168_factors_8_7_3_wgs_224_tpt_56_sp_op_CI_CI_unitstride_sbrr_dirReg
    .private_segment_fixed_size: 0
    .sgpr_count:     34
    .sgpr_spill_count: 0
    .symbol:         fft_rtc_fwd_len168_factors_8_7_3_wgs_224_tpt_56_sp_op_CI_CI_unitstride_sbrr_dirReg.kd
    .uniform_work_group_size: 1
    .uses_dynamic_stack: false
    .vgpr_count:     54
    .vgpr_spill_count: 0
    .wavefront_size: 64
amdhsa.target:   amdgcn-amd-amdhsa--gfx950
amdhsa.version:
  - 1
  - 2
...

	.end_amdgpu_metadata
